;; amdgpu-corpus repo=ROCm/rocFFT kind=compiled arch=gfx1201 opt=O3
	.text
	.amdgcn_target "amdgcn-amd-amdhsa--gfx1201"
	.amdhsa_code_object_version 6
	.protected	fft_rtc_fwd_len112_factors_4_7_4_wgs_448_tpt_28_sp_op_CI_CI_sbrc_erc_z_xy_aligned_dirReg ; -- Begin function fft_rtc_fwd_len112_factors_4_7_4_wgs_448_tpt_28_sp_op_CI_CI_sbrc_erc_z_xy_aligned_dirReg
	.globl	fft_rtc_fwd_len112_factors_4_7_4_wgs_448_tpt_28_sp_op_CI_CI_sbrc_erc_z_xy_aligned_dirReg
	.p2align	8
	.type	fft_rtc_fwd_len112_factors_4_7_4_wgs_448_tpt_28_sp_op_CI_CI_sbrc_erc_z_xy_aligned_dirReg,@function
fft_rtc_fwd_len112_factors_4_7_4_wgs_448_tpt_28_sp_op_CI_CI_sbrc_erc_z_xy_aligned_dirReg: ; @fft_rtc_fwd_len112_factors_4_7_4_wgs_448_tpt_28_sp_op_CI_CI_sbrc_erc_z_xy_aligned_dirReg
; %bb.0:
	s_load_b256 s[4:11], s[0:1], 0x0
	s_wait_kmcnt 0x0
	s_load_b128 s[12:15], s[8:9], 0x8
	s_load_b32 s20, s[10:11], 0x10
	s_wait_kmcnt 0x0
	s_add_co_i32 s2, s12, -1
	s_delay_alu instid0(SALU_CYCLE_1) | instskip(NEXT) | instid1(SALU_CYCLE_1)
	s_lshr_b32 s2, s2, 4
	s_add_co_i32 s3, s2, 1
	s_delay_alu instid0(SALU_CYCLE_1) | instskip(SKIP_3) | instid1(SALU_CYCLE_2)
	s_mul_i32 s8, s3, s14
	s_cvt_f32_u32 s12, s3
	s_cvt_f32_u32 s9, s8
	s_sub_co_i32 s13, 0, s8
	v_rcp_iflag_f32_e32 v1, s9
	s_delay_alu instid0(TRANS32_DEP_1) | instskip(SKIP_1) | instid1(VALU_DEP_2)
	v_readfirstlane_b32 s9, v1
	v_mul_u32_u24_e32 v1, 0x24a, v0
	s_mul_f32 s9, s9, 0x4f7ffffe
	s_delay_alu instid0(VALU_DEP_1) | instskip(SKIP_3) | instid1(VALU_DEP_1)
	v_lshrrev_b32_e32 v11, 16, v1
	v_rcp_iflag_f32_e32 v1, s12
	s_wait_alu 0xfffe
	s_cvt_u32_f32 s9, s9
	v_mul_lo_u16 v2, 0x70, v11
	s_wait_alu 0xfffe
	s_delay_alu instid0(SALU_CYCLE_1)
	s_mul_i32 s13, s13, s9
	s_wait_alu 0xfffe
	s_mul_hi_u32 s12, s9, s13
	v_sub_nc_u16 v2, v0, v2
	s_wait_alu 0xfffe
	s_add_co_i32 s9, s9, s12
	v_readfirstlane_b32 s13, v1
	s_wait_alu 0xfffe
	s_mul_hi_u32 s9, ttmp9, s9
	v_and_b32_e32 v12, 0xffff, v2
	s_wait_alu 0xfffe
	s_mul_i32 s12, s9, s8
	s_add_co_i32 s14, s9, 1
	s_wait_alu 0xfffe
	s_sub_co_i32 s12, ttmp9, s12
	s_mul_f32 s13, s13, 0x4f7ffffe
	s_wait_alu 0xfffe
	s_sub_co_i32 s15, s12, s8
	s_cmp_ge_u32 s12, s8
	s_cselect_b32 s9, s14, s9
	s_cselect_b32 s12, s15, s12
	s_wait_alu 0xfffe
	s_add_co_i32 s14, s9, 1
	s_cmp_ge_u32 s12, s8
	s_cvt_u32_f32 s17, s13
	s_cselect_b32 s16, s14, s9
	s_not_b32 s2, s2
	s_mul_i32 s8, s16, s8
	s_mul_i32 s2, s2, s17
	s_wait_alu 0xfffe
	s_sub_co_i32 s8, ttmp9, s8
	s_mul_hi_u32 s2, s17, s2
	s_load_b128 s[12:15], s[10:11], 0x0
	s_add_co_i32 s17, s17, s2
	s_delay_alu instid0(SALU_CYCLE_1)
	s_mul_hi_u32 s2, s8, s17
	s_mul_hi_u32 s17, ttmp9, s17
	s_mul_i32 s9, s2, s3
	s_mul_i32 s17, s17, s3
	s_wait_alu 0xfffe
	s_sub_co_i32 s8, s8, s9
	s_add_co_i32 s9, s2, 1
	s_wait_kmcnt 0x0
	s_wait_alu 0xfffe
	s_sub_co_i32 s15, s8, s3
	s_cmp_ge_u32 s8, s3
	s_cselect_b32 s2, s9, s2
	s_cselect_b32 s8, s15, s8
	s_add_co_i32 s9, s2, 1
	s_wait_alu 0xfffe
	s_cmp_ge_u32 s8, s3
	s_cselect_b32 s15, s9, s2
	s_sub_co_i32 s2, ttmp9, s17
	s_delay_alu instid0(SALU_CYCLE_1) | instskip(SKIP_4) | instid1(SALU_CYCLE_1)
	s_sub_co_i32 s8, s2, s3
	s_cmp_ge_u32 s2, s3
	v_mad_co_u64_u32 v[1:2], null, s12, v12, 0
	s_wait_alu 0xfffe
	s_cselect_b32 s2, s8, s2
	s_sub_co_i32 s8, s2, s3
	s_cmp_ge_u32 s2, s3
	s_wait_alu 0xfffe
	s_cselect_b32 s21, s8, s2
	s_lshl_b64 s[18:19], s[6:7], 3
	s_load_b64 s[8:9], s[0:1], 0x58
	s_add_nc_u64 s[2:3], s[10:11], s[18:19]
	v_mad_co_u64_u32 v[2:3], null, s13, v12, v[2:3]
	s_load_b64 s[12:13], s[0:1], 0x20
	s_load_b64 s[2:3], s[2:3], 0x0
	v_mul_lo_u32 v3, s14, v11
	s_lshl_b32 s7, s14, 2
	v_mov_b32_e32 v4, 0
	s_mov_b32 s11, 0
	s_lshl_b32 s6, s21, 4
	s_mov_b32 s17, s11
	s_mul_i32 s10, s15, s20
	s_mul_i32 s14, s6, s14
	v_lshlrev_b64_e32 v[5:6], 3, v[3:4]
	v_add_nc_u32_e32 v3, s7, v3
	v_lshlrev_b64_e32 v[1:2], 3, v[1:2]
	s_wait_alu 0xfffe
	s_add_co_i32 s10, s14, s10
	v_mul_u32_u24_e32 v11, 0x388, v11
	s_lshl_b64 s[10:11], s[10:11], 3
	v_lshlrev_b64_e32 v[7:8], 3, v[3:4]
	v_add_nc_u32_e32 v3, s7, v3
	v_lshlrev_b32_e32 v12, 3, v12
	s_wait_kmcnt 0x0
	s_mul_u64 s[2:3], s[2:3], s[16:17]
	s_delay_alu instid0(VALU_DEP_2)
	v_lshlrev_b64_e32 v[9:10], 3, v[3:4]
	s_lshl_b64 s[2:3], s[2:3], 3
	v_add_nc_u32_e32 v3, s7, v3
	s_add_nc_u64 s[2:3], s[8:9], s[2:3]
	v_add3_u32 v11, 0, v11, v12
	s_add_nc_u64 s[2:3], s[2:3], s[10:11]
	s_delay_alu instid0(SALU_CYCLE_1) | instskip(SKIP_2) | instid1(VALU_DEP_3)
	v_add_co_u32 v13, vcc_lo, s2, v1
	v_add_co_ci_u32_e32 v14, vcc_lo, s3, v2, vcc_lo
	v_lshlrev_b64_e32 v[1:2], 3, v[3:4]
	v_add_co_u32 v3, vcc_lo, v13, v5
	s_wait_alu 0xfffd
	s_delay_alu instid0(VALU_DEP_3)
	v_add_co_ci_u32_e32 v4, vcc_lo, v14, v6, vcc_lo
	v_add_co_u32 v5, vcc_lo, v13, v7
	s_wait_alu 0xfffd
	v_add_co_ci_u32_e32 v6, vcc_lo, v14, v8, vcc_lo
	v_add_co_u32 v7, vcc_lo, v13, v9
	s_wait_alu 0xfffd
	;; [unrolled: 3-line block ×3, first 2 shown]
	v_add_co_ci_u32_e32 v2, vcc_lo, v14, v2, vcc_lo
	s_clause 0x3
	global_load_b64 v[3:4], v[3:4], off
	global_load_b64 v[5:6], v[5:6], off
	global_load_b64 v[7:8], v[7:8], off
	global_load_b64 v[1:2], v[1:2], off
	v_mul_u32_u24_e32 v9, 0x925, v0
	s_clause 0x1
	s_load_b128 s[8:11], s[12:13], 0x0
	s_load_b64 s[2:3], s[12:13], 0x10
	s_add_nc_u64 s[12:13], s[12:13], s[18:19]
	s_load_b64 s[12:13], s[12:13], 0x0
	v_lshrrev_b32_e32 v9, 16, v9
	s_wait_loadcnt 0x3
	ds_store_b64 v11, v[3:4]
	s_wait_loadcnt 0x2
	ds_store_b64 v11, v[5:6] offset:3616
	s_wait_loadcnt 0x1
	ds_store_b64 v11, v[7:8] offset:7232
	;; [unrolled: 2-line block ×3, first 2 shown]
	v_and_b32_e32 v10, 15, v9
	v_mul_lo_u16 v9, v9, 28
	global_wb scope:SCOPE_SE
	s_wait_dscnt 0x0
	s_wait_kmcnt 0x0
	s_barrier_signal -1
	s_barrier_wait -1
	v_mul_lo_u16 v10, 0x71, v10
	v_sub_nc_u16 v9, v0, v9
	global_inv scope:SCOPE_SE
	v_and_b32_e32 v10, 0xffff, v10
	v_and_b32_e32 v17, 0xffff, v9
	v_cmp_gt_u16_e32 vcc_lo, 16, v9
	s_delay_alu instid0(VALU_DEP_3) | instskip(NEXT) | instid1(VALU_DEP_3)
	v_lshlrev_b32_e32 v18, 3, v10
	v_lshlrev_b32_e32 v10, 3, v17
	s_delay_alu instid0(VALU_DEP_1)
	v_add3_u32 v15, 0, v10, v18
	v_add3_u32 v16, 0, v18, v10
	ds_load_2addr_b64 v[1:4], v15 offset0:28 offset1:56
	ds_load_b64 v[5:6], v16
	ds_load_b64 v[7:8], v15 offset:672
	global_wb scope:SCOPE_SE
	s_wait_dscnt 0x0
	s_barrier_signal -1
	s_barrier_wait -1
	global_inv scope:SCOPE_SE
	v_dual_sub_f32 v3, v5, v3 :: v_dual_sub_f32 v4, v6, v4
	v_dual_sub_f32 v7, v1, v7 :: v_dual_sub_f32 v8, v2, v8
	s_delay_alu instid0(VALU_DEP_2) | instskip(NEXT) | instid1(VALU_DEP_3)
	v_fma_f32 v5, v5, 2.0, -v3
	v_fma_f32 v6, v6, 2.0, -v4
	s_delay_alu instid0(VALU_DEP_3) | instskip(NEXT) | instid1(VALU_DEP_4)
	v_fma_f32 v10, v1, 2.0, -v7
	v_fma_f32 v12, v2, 2.0, -v8
	v_dual_add_f32 v2, v4, v7 :: v_dual_sub_f32 v1, v3, v8
	v_mad_u32_u24 v7, v17, 24, v15
	s_delay_alu instid0(VALU_DEP_3) | instskip(NEXT) | instid1(VALU_DEP_3)
	v_dual_sub_f32 v11, v5, v10 :: v_dual_sub_f32 v12, v6, v12
	v_fma_f32 v14, v4, 2.0, -v2
	s_delay_alu instid0(VALU_DEP_4) | instskip(NEXT) | instid1(VALU_DEP_3)
	v_fma_f32 v13, v3, 2.0, -v1
                                        ; implicit-def: $vgpr8
                                        ; implicit-def: $vgpr4
	v_fma_f32 v9, v5, 2.0, -v11
	s_delay_alu instid0(VALU_DEP_4)
	v_fma_f32 v10, v6, 2.0, -v12
	ds_store_2addr_b64 v7, v[9:10], v[13:14] offset1:1
	ds_store_2addr_b64 v7, v[11:12], v[1:2] offset0:2 offset1:3
	global_wb scope:SCOPE_SE
	s_wait_dscnt 0x0
	s_barrier_signal -1
	s_barrier_wait -1
	global_inv scope:SCOPE_SE
	s_and_saveexec_b32 s3, vcc_lo
	s_cbranch_execz .LBB0_2
; %bb.1:
	ds_load_2addr_b64 v[1:4], v15 offset0:48 offset1:64
	ds_load_2addr_b64 v[19:22], v15 offset0:16 offset1:32
	ds_load_b64 v[9:10], v16
	ds_load_2addr_b64 v[5:8], v15 offset0:80 offset1:96
	s_wait_dscnt 0x2
	v_dual_mov_b32 v12, v22 :: v_dual_mov_b32 v11, v21
	v_dual_mov_b32 v14, v20 :: v_dual_mov_b32 v13, v19
.LBB0_2:
	s_wait_alu 0xfffe
	s_or_b32 exec_lo, exec_lo, s3
	s_load_b64 s[0:1], s[0:1], 0x60
	global_wb scope:SCOPE_SE
	s_wait_dscnt 0x0
	s_wait_kmcnt 0x0
	s_barrier_signal -1
	s_barrier_wait -1
	global_inv scope:SCOPE_SE
	s_and_saveexec_b32 s3, vcc_lo
	s_cbranch_execz .LBB0_4
; %bb.3:
	v_and_b32_e32 v31, 3, v17
	v_lshrrev_b32_e32 v32, 2, v17
	s_delay_alu instid0(VALU_DEP_2) | instskip(NEXT) | instid1(VALU_DEP_2)
	v_mul_u32_u24_e32 v19, 6, v31
	v_mul_u32_u24_e32 v32, 28, v32
	s_delay_alu instid0(VALU_DEP_2) | instskip(NEXT) | instid1(VALU_DEP_2)
	v_lshlrev_b32_e32 v27, 3, v19
	v_or_b32_e32 v31, v32, v31
	s_clause 0x2
	global_load_b128 v[19:22], v27, s[4:5]
	global_load_b128 v[23:26], v27, s[4:5] offset:32
	global_load_b128 v[27:30], v27, s[4:5] offset:16
	v_lshlrev_b32_e32 v31, 3, v31
	s_wait_loadcnt 0x2
	v_mul_f32_e32 v35, v12, v22
	s_wait_loadcnt 0x1
	v_mul_f32_e32 v32, v8, v26
	s_wait_loadcnt 0x0
	v_dual_mul_f32 v33, v4, v30 :: v_dual_mul_f32 v34, v2, v28
	v_mul_f32_e32 v36, v6, v24
	v_add3_u32 v18, 0, v31, v18
	v_dual_mul_f32 v31, v14, v20 :: v_dual_mul_f32 v26, v7, v26
	v_mul_f32_e32 v20, v13, v20
	v_mul_f32_e32 v28, v1, v28
	v_fma_f32 v7, v7, v25, -v32
	s_delay_alu instid0(VALU_DEP_4)
	v_fma_f32 v13, v13, v19, -v31
	v_mul_f32_e32 v30, v3, v30
	v_fma_f32 v3, v3, v29, -v33
	v_fma_f32 v1, v1, v27, -v34
	v_mul_f32_e32 v22, v11, v22
	v_fma_f32 v11, v11, v21, -v35
	v_mul_f32_e32 v24, v5, v24
	v_fma_f32 v5, v5, v23, -v36
	v_fmac_f32_e32 v28, v2, v27
	v_sub_f32_e32 v2, v13, v7
	v_dual_add_f32 v7, v13, v7 :: v_dual_fmac_f32 v30, v4, v29
	v_dual_sub_f32 v4, v3, v1 :: v_dual_add_f32 v1, v1, v3
	v_fmac_f32_e32 v22, v12, v21
	v_dual_add_f32 v3, v11, v5 :: v_dual_fmac_f32 v24, v6, v23
	s_delay_alu instid0(VALU_DEP_1) | instskip(SKIP_4) | instid1(VALU_DEP_4)
	v_dual_sub_f32 v6, v11, v5 :: v_dual_sub_f32 v13, v22, v24
	v_dual_fmac_f32 v26, v8, v25 :: v_dual_sub_f32 v11, v30, v28
	v_add_f32_e32 v12, v28, v30
	v_fmac_f32_e32 v20, v14, v19
	v_sub_f32_e32 v25, v1, v3
	v_dual_sub_f32 v19, v2, v4 :: v_dual_sub_f32 v28, v11, v13
	s_delay_alu instid0(VALU_DEP_3) | instskip(NEXT) | instid1(VALU_DEP_1)
	v_add_f32_e32 v8, v20, v26
	v_sub_f32_e32 v21, v8, v12
	v_dual_sub_f32 v5, v20, v26 :: v_dual_add_f32 v26, v3, v7
	v_sub_f32_e32 v3, v3, v7
	s_delay_alu instid0(VALU_DEP_2) | instskip(SKIP_3) | instid1(VALU_DEP_3)
	v_sub_f32_e32 v27, v5, v11
	v_dual_add_f32 v11, v11, v13 :: v_dual_add_f32 v14, v22, v24
	v_sub_f32_e32 v24, v7, v1
	v_dual_sub_f32 v20, v4, v6 :: v_dual_sub_f32 v7, v13, v5
	v_add_f32_e32 v5, v11, v5
	s_delay_alu instid0(VALU_DEP_4) | instskip(NEXT) | instid1(VALU_DEP_1)
	v_dual_add_f32 v23, v14, v8 :: v_dual_sub_f32 v22, v12, v14
	v_dual_add_f32 v12, v12, v23 :: v_dual_mul_f32 v23, 0x3d64c772, v25
	v_sub_f32_e32 v8, v14, v8
	v_dual_mul_f32 v14, 0x3f4a47b2, v21 :: v_dual_mul_f32 v21, 0x3f4a47b2, v24
	v_dual_add_f32 v4, v4, v6 :: v_dual_mul_f32 v13, 0xbf08b237, v20
	v_sub_f32_e32 v6, v6, v2
	v_add_f32_e32 v24, v1, v26
	s_delay_alu instid0(VALU_DEP_3) | instskip(NEXT) | instid1(VALU_DEP_3)
	v_dual_add_f32 v4, v4, v2 :: v_dual_fmamk_f32 v29, v19, 0x3eae86e6, v13
	v_dual_mul_f32 v11, 0x3f5ff5aa, v6 :: v_dual_add_f32 v2, v10, v12
	v_fmamk_f32 v10, v25, 0x3d64c772, v21
	v_fma_f32 v13, 0x3f5ff5aa, v6, -v13
	s_delay_alu instid0(VALU_DEP_4) | instskip(SKIP_3) | instid1(VALU_DEP_3)
	v_fmac_f32_e32 v29, 0x3ee1c552, v4
	v_mul_f32_e32 v26, 0xbf08b237, v28
	v_mul_f32_e32 v28, 0x3f5ff5aa, v7
	v_fma_f32 v11, 0xbeae86e6, v19, -v11
	v_fmamk_f32 v25, v27, 0x3eae86e6, v26
	s_delay_alu instid0(VALU_DEP_3) | instskip(NEXT) | instid1(VALU_DEP_2)
	v_fma_f32 v19, 0xbeae86e6, v27, -v28
	v_fmac_f32_e32 v25, 0x3ee1c552, v5
	s_delay_alu instid0(VALU_DEP_2) | instskip(SKIP_4) | instid1(VALU_DEP_4)
	v_fmac_f32_e32 v19, 0x3ee1c552, v5
	v_add_f32_e32 v1, v9, v24
	v_fma_f32 v9, 0xbf3bfb3b, v8, -v14
	v_fmac_f32_e32 v11, 0x3ee1c552, v4
	v_fmamk_f32 v6, v12, 0xbf955555, v2
	v_fmamk_f32 v12, v24, 0xbf955555, v1
	v_mul_f32_e32 v20, 0x3d64c772, v22
	v_fmamk_f32 v22, v22, 0x3d64c772, v14
	v_fma_f32 v14, 0xbf3bfb3b, v3, -v21
	v_fma_f32 v3, 0x3f3bfb3b, v3, -v23
	v_fmac_f32_e32 v13, 0x3ee1c552, v4
	v_add_f32_e32 v21, v10, v12
	s_delay_alu instid0(VALU_DEP_4) | instskip(SKIP_3) | instid1(VALU_DEP_3)
	v_add_f32_e32 v23, v14, v12
	v_fma_f32 v8, 0x3f3bfb3b, v8, -v20
	v_dual_add_f32 v20, v22, v6 :: v_dual_add_f32 v3, v3, v12
	v_add_f32_e32 v22, v9, v6
	v_add_f32_e32 v9, v8, v6
	v_fma_f32 v7, 0x3f5ff5aa, v7, -v26
	s_delay_alu instid0(VALU_DEP_4) | instskip(SKIP_1) | instid1(VALU_DEP_4)
	v_sub_f32_e32 v14, v20, v29
	v_add_f32_e32 v4, v29, v20
	v_sub_f32_e32 v8, v9, v13
	s_delay_alu instid0(VALU_DEP_4) | instskip(SKIP_3) | instid1(VALU_DEP_4)
	v_fmac_f32_e32 v7, 0x3ee1c552, v5
	v_add_f32_e32 v10, v13, v9
	v_add_f32_e32 v13, v25, v21
	v_sub_f32_e32 v5, v23, v19
	v_sub_f32_e32 v9, v3, v7
	v_add_f32_e32 v7, v7, v3
	v_dual_add_f32 v6, v11, v22 :: v_dual_sub_f32 v3, v21, v25
	v_sub_f32_e32 v12, v22, v11
	v_add_f32_e32 v11, v19, v23
	ds_store_2addr_b64 v18, v[1:2], v[13:14] offset1:4
	ds_store_2addr_b64 v18, v[11:12], v[9:10] offset0:8 offset1:12
	ds_store_2addr_b64 v18, v[7:8], v[5:6] offset0:16 offset1:20
	ds_store_b64 v18, v[3:4] offset:192
.LBB0_4:
	s_wait_alu 0xfffe
	s_or_b32 exec_lo, exec_lo, s3
	v_and_b32_e32 v25, 15, v0
	v_mul_u32_u24_e32 v1, 3, v17
	global_wb scope:SCOPE_SE
	s_wait_dscnt 0x0
	s_barrier_signal -1
	s_barrier_wait -1
	v_mad_co_u64_u32 v[20:21], null, s8, v25, 0
	v_lshlrev_b32_e32 v1, 3, v1
	global_inv scope:SCOPE_SE
	v_lshrrev_b32_e32 v24, 4, v0
	s_mul_i32 s3, s2, 28
	v_mov_b32_e32 v14, v21
	s_clause 0x1
	global_load_b128 v[2:5], v1, s[4:5] offset:192
	global_load_b64 v[10:11], v1, s[4:5] offset:208
	ds_load_2addr_b64 v[6:9], v15 offset0:28 offset1:56
	ds_load_b64 v[12:13], v16
	ds_load_b64 v[16:17], v15 offset:672
	v_mul_lo_u32 v18, v24, s2
	v_mov_b32_e32 v19, 0
	v_mad_u32_u24 v1, 0x388, v25, 0
	s_mov_b32 s5, 0
	s_mul_i32 s4, s15, s10
	s_mov_b32 s7, s5
	s_mul_u64 s[10:11], s[12:13], s[16:17]
	v_lshl_add_u32 v27, v24, 3, v1
	v_lshlrev_b64_e32 v[22:23], 3, v[18:19]
	s_wait_alu 0xfffe
	v_add_nc_u32_e32 v18, s3, v18
	v_mad_co_u64_u32 v[24:25], null, s9, v25, v[14:15]
	s_mul_u64 s[6:7], s[8:9], s[6:7]
	s_lshl_b64 s[12:13], s[4:5], 3
	s_delay_alu instid0(VALU_DEP_2)
	v_lshlrev_b64_e32 v[25:26], 3, v[18:19]
	s_wait_alu 0xfffe
	s_lshl_b64 s[6:7], s[6:7], 3
	s_lshl_b64 s[10:11], s[10:11], 3
	s_wait_alu 0xfffe
	s_add_nc_u64 s[0:1], s[0:1], s[6:7]
	global_wb scope:SCOPE_SE
	s_wait_loadcnt_dscnt 0x0
	s_add_nc_u64 s[0:1], s[0:1], s[12:13]
	s_barrier_signal -1
	s_add_nc_u64 s[0:1], s[0:1], s[10:11]
	s_barrier_wait -1
	global_inv scope:SCOPE_SE
	v_dual_mul_f32 v21, v5, v9 :: v_dual_add_nc_u32 v18, s3, v18
	v_dual_mul_f32 v5, v5, v8 :: v_dual_mul_f32 v28, v11, v17
	v_mul_f32_e32 v14, v3, v7
	v_mul_f32_e32 v11, v11, v16
	s_delay_alu instid0(VALU_DEP_3) | instskip(SKIP_1) | instid1(VALU_DEP_4)
	v_fmac_f32_e32 v5, v4, v9
	v_mul_f32_e32 v3, v3, v6
	v_fma_f32 v6, v2, v6, -v14
	s_delay_alu instid0(VALU_DEP_4) | instskip(NEXT) | instid1(VALU_DEP_3)
	v_fmac_f32_e32 v11, v10, v17
	v_fmac_f32_e32 v3, v2, v7
	v_fma_f32 v2, v4, v8, -v21
	v_fma_f32 v4, v10, v16, -v28
	v_mov_b32_e32 v21, v24
	v_lshlrev_b64_e32 v[16:17], 3, v[18:19]
	v_add_nc_u32_e32 v18, s3, v18
	v_dual_sub_f32 v7, v12, v2 :: v_dual_sub_f32 v2, v3, v11
	v_sub_f32_e32 v4, v6, v4
	v_sub_f32_e32 v8, v13, v5
	s_delay_alu instid0(VALU_DEP_3) | instskip(NEXT) | instid1(VALU_DEP_3)
	v_fma_f32 v9, v12, 2.0, -v7
	v_fma_f32 v5, v6, 2.0, -v4
	s_delay_alu instid0(VALU_DEP_3) | instskip(SKIP_2) | instid1(VALU_DEP_4)
	v_fma_f32 v10, v13, 2.0, -v8
	v_fma_f32 v6, v3, 2.0, -v2
	v_dual_sub_f32 v2, v7, v2 :: v_dual_add_f32 v3, v8, v4
	v_sub_f32_e32 v4, v9, v5
	v_lshlrev_b64_e32 v[12:13], 3, v[18:19]
	s_delay_alu instid0(VALU_DEP_4) | instskip(NEXT) | instid1(VALU_DEP_4)
	v_sub_f32_e32 v5, v10, v6
	v_fma_f32 v6, v7, 2.0, -v2
	v_fma_f32 v7, v8, 2.0, -v3
	;; [unrolled: 1-line block ×3, first 2 shown]
	s_delay_alu instid0(VALU_DEP_4)
	v_fma_f32 v9, v10, 2.0, -v5
	v_lshlrev_b64_e32 v[10:11], 3, v[20:21]
	ds_store_2addr_b64 v15, v[4:5], v[2:3] offset0:56 offset1:84
	ds_store_2addr_b64 v15, v[8:9], v[6:7] offset1:28
	global_wb scope:SCOPE_SE
	s_wait_dscnt 0x0
	s_barrier_signal -1
	s_barrier_wait -1
	global_inv scope:SCOPE_SE
	ds_load_2addr_b64 v[4:7], v27 offset1:28
	v_add_co_u32 v2, vcc_lo, s0, v10
	s_wait_alu 0xfffd
	v_add_co_ci_u32_e32 v3, vcc_lo, s1, v11, vcc_lo
	ds_load_2addr_b64 v[8:11], v27 offset0:56 offset1:84
	v_add_co_u32 v14, vcc_lo, v2, v22
	s_wait_alu 0xfffd
	v_add_co_ci_u32_e32 v15, vcc_lo, v3, v23, vcc_lo
	v_add_co_u32 v18, vcc_lo, v2, v25
	s_wait_alu 0xfffd
	v_add_co_ci_u32_e32 v19, vcc_lo, v3, v26, vcc_lo
	;; [unrolled: 3-line block ×4, first 2 shown]
	s_wait_dscnt 0x1
	s_clause 0x1
	global_store_b64 v[14:15], v[4:5], off
	global_store_b64 v[18:19], v[6:7], off
	s_wait_dscnt 0x0
	s_clause 0x1
	global_store_b64 v[16:17], v[8:9], off
	global_store_b64 v[12:13], v[10:11], off
	s_mov_b32 s0, exec_lo
	v_cmpx_gt_u32_e32 16, v0
	s_cbranch_execz .LBB0_6
; %bb.5:
	ds_load_b64 v[0:1], v1 offset:896
	s_mul_i32 s4, s2, 0x70
	s_delay_alu instid0(SALU_CYCLE_1)
	s_lshl_b64 s[0:1], s[4:5], 3
	s_wait_alu 0xfffe
	v_add_co_u32 v2, vcc_lo, v2, s0
	s_wait_alu 0xfffd
	v_add_co_ci_u32_e32 v3, vcc_lo, s1, v3, vcc_lo
	s_wait_dscnt 0x0
	global_store_b64 v[2:3], v[0:1], off
.LBB0_6:
	s_nop 0
	s_sendmsg sendmsg(MSG_DEALLOC_VGPRS)
	s_endpgm
	.section	.rodata,"a",@progbits
	.p2align	6, 0x0
	.amdhsa_kernel fft_rtc_fwd_len112_factors_4_7_4_wgs_448_tpt_28_sp_op_CI_CI_sbrc_erc_z_xy_aligned_dirReg
		.amdhsa_group_segment_fixed_size 0
		.amdhsa_private_segment_fixed_size 0
		.amdhsa_kernarg_size 104
		.amdhsa_user_sgpr_count 2
		.amdhsa_user_sgpr_dispatch_ptr 0
		.amdhsa_user_sgpr_queue_ptr 0
		.amdhsa_user_sgpr_kernarg_segment_ptr 1
		.amdhsa_user_sgpr_dispatch_id 0
		.amdhsa_user_sgpr_private_segment_size 0
		.amdhsa_wavefront_size32 1
		.amdhsa_uses_dynamic_stack 0
		.amdhsa_enable_private_segment 0
		.amdhsa_system_sgpr_workgroup_id_x 1
		.amdhsa_system_sgpr_workgroup_id_y 0
		.amdhsa_system_sgpr_workgroup_id_z 0
		.amdhsa_system_sgpr_workgroup_info 0
		.amdhsa_system_vgpr_workitem_id 0
		.amdhsa_next_free_vgpr 37
		.amdhsa_next_free_sgpr 22
		.amdhsa_reserve_vcc 1
		.amdhsa_float_round_mode_32 0
		.amdhsa_float_round_mode_16_64 0
		.amdhsa_float_denorm_mode_32 3
		.amdhsa_float_denorm_mode_16_64 3
		.amdhsa_fp16_overflow 0
		.amdhsa_workgroup_processor_mode 1
		.amdhsa_memory_ordered 1
		.amdhsa_forward_progress 0
		.amdhsa_round_robin_scheduling 0
		.amdhsa_exception_fp_ieee_invalid_op 0
		.amdhsa_exception_fp_denorm_src 0
		.amdhsa_exception_fp_ieee_div_zero 0
		.amdhsa_exception_fp_ieee_overflow 0
		.amdhsa_exception_fp_ieee_underflow 0
		.amdhsa_exception_fp_ieee_inexact 0
		.amdhsa_exception_int_div_zero 0
	.end_amdhsa_kernel
	.text
.Lfunc_end0:
	.size	fft_rtc_fwd_len112_factors_4_7_4_wgs_448_tpt_28_sp_op_CI_CI_sbrc_erc_z_xy_aligned_dirReg, .Lfunc_end0-fft_rtc_fwd_len112_factors_4_7_4_wgs_448_tpt_28_sp_op_CI_CI_sbrc_erc_z_xy_aligned_dirReg
                                        ; -- End function
	.section	.AMDGPU.csdata,"",@progbits
; Kernel info:
; codeLenInByte = 2816
; NumSgprs: 24
; NumVgprs: 37
; ScratchSize: 0
; MemoryBound: 0
; FloatMode: 240
; IeeeMode: 1
; LDSByteSize: 0 bytes/workgroup (compile time only)
; SGPRBlocks: 2
; VGPRBlocks: 4
; NumSGPRsForWavesPerEU: 24
; NumVGPRsForWavesPerEU: 37
; Occupancy: 14
; WaveLimiterHint : 1
; COMPUTE_PGM_RSRC2:SCRATCH_EN: 0
; COMPUTE_PGM_RSRC2:USER_SGPR: 2
; COMPUTE_PGM_RSRC2:TRAP_HANDLER: 0
; COMPUTE_PGM_RSRC2:TGID_X_EN: 1
; COMPUTE_PGM_RSRC2:TGID_Y_EN: 0
; COMPUTE_PGM_RSRC2:TGID_Z_EN: 0
; COMPUTE_PGM_RSRC2:TIDIG_COMP_CNT: 0
	.text
	.p2alignl 7, 3214868480
	.fill 96, 4, 3214868480
	.type	__hip_cuid_ab3d4d611b215fcd,@object ; @__hip_cuid_ab3d4d611b215fcd
	.section	.bss,"aw",@nobits
	.globl	__hip_cuid_ab3d4d611b215fcd
__hip_cuid_ab3d4d611b215fcd:
	.byte	0                               ; 0x0
	.size	__hip_cuid_ab3d4d611b215fcd, 1

	.ident	"AMD clang version 19.0.0git (https://github.com/RadeonOpenCompute/llvm-project roc-6.4.0 25133 c7fe45cf4b819c5991fe208aaa96edf142730f1d)"
	.section	".note.GNU-stack","",@progbits
	.addrsig
	.addrsig_sym __hip_cuid_ab3d4d611b215fcd
	.amdgpu_metadata
---
amdhsa.kernels:
  - .args:
      - .actual_access:  read_only
        .address_space:  global
        .offset:         0
        .size:           8
        .value_kind:     global_buffer
      - .offset:         8
        .size:           8
        .value_kind:     by_value
      - .actual_access:  read_only
        .address_space:  global
        .offset:         16
        .size:           8
        .value_kind:     global_buffer
      - .actual_access:  read_only
        .address_space:  global
        .offset:         24
        .size:           8
        .value_kind:     global_buffer
      - .actual_access:  read_only
        .address_space:  global
        .offset:         32
        .size:           8
        .value_kind:     global_buffer
      - .offset:         40
        .size:           8
        .value_kind:     by_value
      - .actual_access:  read_only
        .address_space:  global
        .offset:         48
        .size:           8
        .value_kind:     global_buffer
      - .actual_access:  read_only
        .address_space:  global
        .offset:         56
        .size:           8
        .value_kind:     global_buffer
      - .offset:         64
        .size:           4
        .value_kind:     by_value
      - .actual_access:  read_only
        .address_space:  global
        .offset:         72
        .size:           8
        .value_kind:     global_buffer
      - .actual_access:  read_only
        .address_space:  global
        .offset:         80
        .size:           8
        .value_kind:     global_buffer
      - .actual_access:  read_only
        .address_space:  global
        .offset:         88
        .size:           8
        .value_kind:     global_buffer
      - .actual_access:  write_only
        .address_space:  global
        .offset:         96
        .size:           8
        .value_kind:     global_buffer
    .group_segment_fixed_size: 0
    .kernarg_segment_align: 8
    .kernarg_segment_size: 104
    .language:       OpenCL C
    .language_version:
      - 2
      - 0
    .max_flat_workgroup_size: 448
    .name:           fft_rtc_fwd_len112_factors_4_7_4_wgs_448_tpt_28_sp_op_CI_CI_sbrc_erc_z_xy_aligned_dirReg
    .private_segment_fixed_size: 0
    .sgpr_count:     24
    .sgpr_spill_count: 0
    .symbol:         fft_rtc_fwd_len112_factors_4_7_4_wgs_448_tpt_28_sp_op_CI_CI_sbrc_erc_z_xy_aligned_dirReg.kd
    .uniform_work_group_size: 1
    .uses_dynamic_stack: false
    .vgpr_count:     37
    .vgpr_spill_count: 0
    .wavefront_size: 32
    .workgroup_processor_mode: 1
amdhsa.target:   amdgcn-amd-amdhsa--gfx1201
amdhsa.version:
  - 1
  - 2
...

	.end_amdgpu_metadata
